;; amdgpu-corpus repo=ROCm/rocFFT kind=compiled arch=gfx1030 opt=O3
	.text
	.amdgcn_target "amdgcn-amd-amdhsa--gfx1030"
	.amdhsa_code_object_version 6
	.protected	fft_rtc_fwd_len130_factors_13_10_wgs_52_tpt_13_sp_ip_CI_unitstride_sbrr_R2C_dirReg ; -- Begin function fft_rtc_fwd_len130_factors_13_10_wgs_52_tpt_13_sp_ip_CI_unitstride_sbrr_R2C_dirReg
	.globl	fft_rtc_fwd_len130_factors_13_10_wgs_52_tpt_13_sp_ip_CI_unitstride_sbrr_R2C_dirReg
	.p2align	8
	.type	fft_rtc_fwd_len130_factors_13_10_wgs_52_tpt_13_sp_ip_CI_unitstride_sbrr_R2C_dirReg,@function
fft_rtc_fwd_len130_factors_13_10_wgs_52_tpt_13_sp_ip_CI_unitstride_sbrr_R2C_dirReg: ; @fft_rtc_fwd_len130_factors_13_10_wgs_52_tpt_13_sp_ip_CI_unitstride_sbrr_R2C_dirReg
; %bb.0:
	s_clause 0x2
	s_load_dwordx4 s[8:11], s[4:5], 0x0
	s_load_dwordx2 s[2:3], s[4:5], 0x50
	s_load_dwordx2 s[12:13], s[4:5], 0x18
	v_mul_u32_u24_e32 v1, 0x13b2, v0
	v_mov_b32_e32 v3, 0
	v_lshrrev_b32_e32 v9, 16, v1
	v_mov_b32_e32 v1, 0
	v_mov_b32_e32 v6, v3
	v_mov_b32_e32 v2, 0
	v_lshl_add_u32 v5, s6, 2, v9
	s_waitcnt lgkmcnt(0)
	v_cmp_lt_u64_e64 s0, s[10:11], 2
	s_and_b32 vcc_lo, exec_lo, s0
	s_cbranch_vccnz .LBB0_8
; %bb.1:
	s_load_dwordx2 s[0:1], s[4:5], 0x10
	v_mov_b32_e32 v1, 0
	s_add_u32 s6, s12, 8
	v_mov_b32_e32 v2, 0
	s_addc_u32 s7, s13, 0
	s_mov_b64 s[16:17], 1
	s_waitcnt lgkmcnt(0)
	s_add_u32 s14, s0, 8
	s_addc_u32 s15, s1, 0
.LBB0_2:                                ; =>This Inner Loop Header: Depth=1
	s_load_dwordx2 s[18:19], s[14:15], 0x0
                                        ; implicit-def: $vgpr7_vgpr8
	s_mov_b32 s0, exec_lo
	s_waitcnt lgkmcnt(0)
	v_or_b32_e32 v4, s19, v6
	v_cmpx_ne_u64_e32 0, v[3:4]
	s_xor_b32 s1, exec_lo, s0
	s_cbranch_execz .LBB0_4
; %bb.3:                                ;   in Loop: Header=BB0_2 Depth=1
	v_cvt_f32_u32_e32 v4, s18
	v_cvt_f32_u32_e32 v7, s19
	s_sub_u32 s0, 0, s18
	s_subb_u32 s20, 0, s19
	v_fmac_f32_e32 v4, 0x4f800000, v7
	v_rcp_f32_e32 v4, v4
	v_mul_f32_e32 v4, 0x5f7ffffc, v4
	v_mul_f32_e32 v7, 0x2f800000, v4
	v_trunc_f32_e32 v7, v7
	v_fmac_f32_e32 v4, 0xcf800000, v7
	v_cvt_u32_f32_e32 v7, v7
	v_cvt_u32_f32_e32 v4, v4
	v_mul_lo_u32 v8, s0, v7
	v_mul_hi_u32 v10, s0, v4
	v_mul_lo_u32 v11, s20, v4
	v_add_nc_u32_e32 v8, v10, v8
	v_mul_lo_u32 v10, s0, v4
	v_add_nc_u32_e32 v8, v8, v11
	v_mul_hi_u32 v11, v4, v10
	v_mul_lo_u32 v12, v4, v8
	v_mul_hi_u32 v13, v4, v8
	v_mul_hi_u32 v14, v7, v10
	v_mul_lo_u32 v10, v7, v10
	v_mul_hi_u32 v15, v7, v8
	v_mul_lo_u32 v8, v7, v8
	v_add_co_u32 v11, vcc_lo, v11, v12
	v_add_co_ci_u32_e32 v12, vcc_lo, 0, v13, vcc_lo
	v_add_co_u32 v10, vcc_lo, v11, v10
	v_add_co_ci_u32_e32 v10, vcc_lo, v12, v14, vcc_lo
	v_add_co_ci_u32_e32 v11, vcc_lo, 0, v15, vcc_lo
	v_add_co_u32 v8, vcc_lo, v10, v8
	v_add_co_ci_u32_e32 v10, vcc_lo, 0, v11, vcc_lo
	v_add_co_u32 v4, vcc_lo, v4, v8
	v_add_co_ci_u32_e32 v7, vcc_lo, v7, v10, vcc_lo
	v_mul_hi_u32 v8, s0, v4
	v_mul_lo_u32 v11, s20, v4
	v_mul_lo_u32 v10, s0, v7
	v_add_nc_u32_e32 v8, v8, v10
	v_mul_lo_u32 v10, s0, v4
	v_add_nc_u32_e32 v8, v8, v11
	v_mul_hi_u32 v11, v4, v10
	v_mul_lo_u32 v12, v4, v8
	v_mul_hi_u32 v13, v4, v8
	v_mul_hi_u32 v14, v7, v10
	v_mul_lo_u32 v10, v7, v10
	v_mul_hi_u32 v15, v7, v8
	v_mul_lo_u32 v8, v7, v8
	v_add_co_u32 v11, vcc_lo, v11, v12
	v_add_co_ci_u32_e32 v12, vcc_lo, 0, v13, vcc_lo
	v_add_co_u32 v10, vcc_lo, v11, v10
	v_add_co_ci_u32_e32 v10, vcc_lo, v12, v14, vcc_lo
	v_add_co_ci_u32_e32 v11, vcc_lo, 0, v15, vcc_lo
	v_add_co_u32 v8, vcc_lo, v10, v8
	v_add_co_ci_u32_e32 v10, vcc_lo, 0, v11, vcc_lo
	v_add_co_u32 v4, vcc_lo, v4, v8
	v_add_co_ci_u32_e32 v12, vcc_lo, v7, v10, vcc_lo
	v_mul_hi_u32 v14, v5, v4
	v_mad_u64_u32 v[10:11], null, v6, v4, 0
	v_mad_u64_u32 v[7:8], null, v5, v12, 0
	;; [unrolled: 1-line block ×3, first 2 shown]
	v_add_co_u32 v4, vcc_lo, v14, v7
	v_add_co_ci_u32_e32 v7, vcc_lo, 0, v8, vcc_lo
	v_add_co_u32 v4, vcc_lo, v4, v10
	v_add_co_ci_u32_e32 v4, vcc_lo, v7, v11, vcc_lo
	v_add_co_ci_u32_e32 v7, vcc_lo, 0, v13, vcc_lo
	v_add_co_u32 v4, vcc_lo, v4, v12
	v_add_co_ci_u32_e32 v10, vcc_lo, 0, v7, vcc_lo
	v_mul_lo_u32 v11, s19, v4
	v_mad_u64_u32 v[7:8], null, s18, v4, 0
	v_mul_lo_u32 v12, s18, v10
	v_sub_co_u32 v7, vcc_lo, v5, v7
	v_add3_u32 v8, v8, v12, v11
	v_sub_nc_u32_e32 v11, v6, v8
	v_subrev_co_ci_u32_e64 v11, s0, s19, v11, vcc_lo
	v_add_co_u32 v12, s0, v4, 2
	v_add_co_ci_u32_e64 v13, s0, 0, v10, s0
	v_sub_co_u32 v14, s0, v7, s18
	v_sub_co_ci_u32_e32 v8, vcc_lo, v6, v8, vcc_lo
	v_subrev_co_ci_u32_e64 v11, s0, 0, v11, s0
	v_cmp_le_u32_e32 vcc_lo, s18, v14
	v_cmp_eq_u32_e64 s0, s19, v8
	v_cndmask_b32_e64 v14, 0, -1, vcc_lo
	v_cmp_le_u32_e32 vcc_lo, s19, v11
	v_cndmask_b32_e64 v15, 0, -1, vcc_lo
	v_cmp_le_u32_e32 vcc_lo, s18, v7
	;; [unrolled: 2-line block ×3, first 2 shown]
	v_cndmask_b32_e64 v16, 0, -1, vcc_lo
	v_cmp_eq_u32_e32 vcc_lo, s19, v11
	v_cndmask_b32_e64 v7, v16, v7, s0
	v_cndmask_b32_e32 v11, v15, v14, vcc_lo
	v_add_co_u32 v14, vcc_lo, v4, 1
	v_add_co_ci_u32_e32 v15, vcc_lo, 0, v10, vcc_lo
	v_cmp_ne_u32_e32 vcc_lo, 0, v11
	v_cndmask_b32_e32 v8, v15, v13, vcc_lo
	v_cndmask_b32_e32 v11, v14, v12, vcc_lo
	v_cmp_ne_u32_e32 vcc_lo, 0, v7
	v_cndmask_b32_e32 v8, v10, v8, vcc_lo
	v_cndmask_b32_e32 v7, v4, v11, vcc_lo
.LBB0_4:                                ;   in Loop: Header=BB0_2 Depth=1
	s_andn2_saveexec_b32 s0, s1
	s_cbranch_execz .LBB0_6
; %bb.5:                                ;   in Loop: Header=BB0_2 Depth=1
	v_cvt_f32_u32_e32 v4, s18
	s_sub_i32 s1, 0, s18
	v_rcp_iflag_f32_e32 v4, v4
	v_mul_f32_e32 v4, 0x4f7ffffe, v4
	v_cvt_u32_f32_e32 v4, v4
	v_mul_lo_u32 v7, s1, v4
	v_mul_hi_u32 v7, v4, v7
	v_add_nc_u32_e32 v4, v4, v7
	v_mul_hi_u32 v4, v5, v4
	v_mul_lo_u32 v7, v4, s18
	v_add_nc_u32_e32 v8, 1, v4
	v_sub_nc_u32_e32 v7, v5, v7
	v_subrev_nc_u32_e32 v10, s18, v7
	v_cmp_le_u32_e32 vcc_lo, s18, v7
	v_cndmask_b32_e32 v7, v7, v10, vcc_lo
	v_cndmask_b32_e32 v4, v4, v8, vcc_lo
	v_cmp_le_u32_e32 vcc_lo, s18, v7
	v_add_nc_u32_e32 v8, 1, v4
	v_cndmask_b32_e32 v7, v4, v8, vcc_lo
	v_mov_b32_e32 v8, v3
.LBB0_6:                                ;   in Loop: Header=BB0_2 Depth=1
	s_or_b32 exec_lo, exec_lo, s0
	s_load_dwordx2 s[0:1], s[6:7], 0x0
	v_mul_lo_u32 v4, v8, s18
	v_mul_lo_u32 v12, v7, s19
	v_mad_u64_u32 v[10:11], null, v7, s18, 0
	s_add_u32 s16, s16, 1
	s_addc_u32 s17, s17, 0
	s_add_u32 s6, s6, 8
	s_addc_u32 s7, s7, 0
	;; [unrolled: 2-line block ×3, first 2 shown]
	v_add3_u32 v4, v11, v12, v4
	v_sub_co_u32 v5, vcc_lo, v5, v10
	v_sub_co_ci_u32_e32 v4, vcc_lo, v6, v4, vcc_lo
	s_waitcnt lgkmcnt(0)
	v_mul_lo_u32 v6, s1, v5
	v_mul_lo_u32 v4, s0, v4
	v_mad_u64_u32 v[1:2], null, s0, v5, v[1:2]
	v_cmp_ge_u64_e64 s0, s[16:17], s[10:11]
	s_and_b32 vcc_lo, exec_lo, s0
	v_add3_u32 v2, v6, v2, v4
	s_cbranch_vccnz .LBB0_9
; %bb.7:                                ;   in Loop: Header=BB0_2 Depth=1
	v_mov_b32_e32 v5, v7
	v_mov_b32_e32 v6, v8
	s_branch .LBB0_2
.LBB0_8:
	v_mov_b32_e32 v8, v6
	v_mov_b32_e32 v7, v5
.LBB0_9:
	s_lshl_b64 s[0:1], s[10:11], 3
	v_mul_hi_u32 v3, 0x13b13b14, v0
	s_add_u32 s0, s12, s0
	s_addc_u32 s1, s13, s1
	v_and_b32_e32 v6, 3, v9
	s_load_dwordx2 s[0:1], s[0:1], 0x0
	s_load_dwordx2 s[4:5], s[4:5], 0x20
	v_mul_u32_u24_e32 v3, 13, v3
	v_sub_nc_u32_e32 v24, v0, v3
	v_lshlrev_b32_e32 v31, 3, v24
	s_waitcnt lgkmcnt(0)
	v_mul_lo_u32 v4, s0, v8
	v_mul_lo_u32 v5, s1, v7
	v_mad_u64_u32 v[1:2], null, s0, v7, v[1:2]
	v_cmp_gt_u64_e32 vcc_lo, s[4:5], v[7:8]
	v_add3_u32 v2, v5, v2, v4
	v_mul_u32_u24_e32 v4, 0x83, v6
	v_lshlrev_b64 v[26:27], 3, v[1:2]
	v_lshlrev_b32_e32 v33, 3, v4
	s_and_saveexec_b32 s1, vcc_lo
	s_cbranch_execz .LBB0_11
; %bb.10:
	v_mov_b32_e32 v25, 0
	v_add_co_u32 v2, s0, s2, v26
	v_add_co_ci_u32_e64 v3, s0, s3, v27, s0
	v_lshlrev_b64 v[0:1], 3, v[24:25]
	v_add3_u32 v20, 0, v33, v31
	v_add_co_u32 v0, s0, v2, v0
	v_add_co_ci_u32_e64 v1, s0, v3, v1, s0
	s_clause 0x9
	global_load_dwordx2 v[2:3], v[0:1], off
	global_load_dwordx2 v[4:5], v[0:1], off offset:104
	global_load_dwordx2 v[6:7], v[0:1], off offset:208
	;; [unrolled: 1-line block ×9, first 2 shown]
	s_waitcnt vmcnt(8)
	ds_write2_b64 v20, v[2:3], v[4:5] offset1:13
	s_waitcnt vmcnt(6)
	ds_write2_b64 v20, v[6:7], v[8:9] offset0:26 offset1:39
	s_waitcnt vmcnt(4)
	ds_write2_b64 v20, v[10:11], v[12:13] offset0:52 offset1:65
	;; [unrolled: 2-line block ×4, first 2 shown]
.LBB0_11:
	s_or_b32 exec_lo, exec_lo, s1
	v_add_nc_u32_e32 v25, 0, v33
	v_add3_u32 v32, 0, v31, v33
	s_waitcnt lgkmcnt(0)
	s_barrier
	buffer_gl0_inv
	v_add_nc_u32_e32 v30, v25, v31
	ds_read2_b64 v[20:23], v32 offset0:10 offset1:20
	ds_read2_b64 v[16:19], v32 offset0:30 offset1:40
	;; [unrolled: 1-line block ×4, first 2 shown]
	ds_read_b64 v[28:29], v30
	ds_read2_b64 v[4:7], v32 offset0:90 offset1:100
	ds_read2_b64 v[0:3], v32 offset0:110 offset1:120
	s_mov_b32 s1, exec_lo
	s_waitcnt lgkmcnt(0)
	s_barrier
	buffer_gl0_inv
	v_cmpx_gt_u32_e32 10, v24
	s_cbranch_execz .LBB0_13
; %bb.12:
	v_sub_f32_e32 v53, v20, v2
	v_add_f32_e32 v38, v3, v21
	v_sub_f32_e32 v52, v22, v0
	v_add_f32_e32 v37, v1, v23
	v_sub_f32_e32 v51, v16, v6
	v_mul_f32_e32 v45, 0xbe750f2a, v53
	v_add_f32_e32 v36, v7, v17
	v_mul_f32_e32 v41, 0x3eedf032, v52
	v_sub_f32_e32 v49, v18, v4
	v_mul_f32_e32 v42, 0xbf29c268, v51
	v_fmamk_f32 v39, v38, 0xbf788fa5, v45
	v_add_f32_e32 v34, v5, v19
	v_fmamk_f32 v40, v37, 0x3f62ad3f, v41
	v_sub_f32_e32 v50, v12, v10
	v_mul_f32_e32 v43, 0x3f52af12, v49
	v_add_f32_e32 v44, v29, v39
	v_fmamk_f32 v46, v36, 0xbf3f9e67, v42
	v_add_f32_e32 v35, v11, v13
	v_sub_f32_e32 v54, v21, v3
	v_fmamk_f32 v48, v34, 0x3f116cb1, v43
	v_add_f32_e32 v40, v40, v44
	v_mul_f32_e32 v44, 0xbf6f5d39, v50
	v_add_f32_e32 v39, v2, v20
	v_sub_f32_e32 v55, v23, v1
	v_mul_f32_e32 v47, 0xbe750f2a, v54
	v_add_f32_e32 v56, v46, v40
	v_fmamk_f32 v57, v35, 0xbeb58ec6, v44
	v_add_f32_e32 v21, v29, v21
	v_add_f32_e32 v40, v0, v22
	v_mul_f32_e32 v46, 0x3eedf032, v55
	v_add_f32_e32 v59, v48, v56
	v_fma_f32 v58, 0xbf788fa5, v39, -v47
	v_sub_f32_e32 v56, v17, v7
	v_add_f32_e32 v23, v21, v23
	v_fma_f32 v60, 0x3f62ad3f, v40, -v46
	v_add_f32_e32 v57, v57, v59
	v_add_f32_e32 v59, v28, v20
	v_add_f32_e32 v58, v28, v58
	v_add_f32_e32 v20, v6, v16
	v_mul_f32_e32 v61, 0xbf29c268, v56
	v_add_f32_e32 v17, v23, v17
	v_add_f32_e32 v22, v59, v22
	v_sub_f32_e32 v59, v19, v5
	v_add_f32_e32 v58, v60, v58
	v_fma_f32 v60, 0xbf3f9e67, v20, -v61
	v_add_f32_e32 v21, v4, v18
	v_add_f32_e32 v16, v22, v16
	v_mul_f32_e32 v22, 0x3f52af12, v59
	v_add_f32_e32 v17, v17, v19
	v_add_f32_e32 v58, v60, v58
	v_sub_f32_e32 v60, v13, v11
	v_add_f32_e32 v18, v16, v18
	v_fma_f32 v19, 0x3f116cb1, v21, -v22
	v_add_f32_e32 v17, v17, v13
	v_sub_f32_e32 v48, v14, v8
	v_add_f32_e32 v13, v10, v12
	v_add_f32_e32 v18, v18, v12
	;; [unrolled: 1-line block ×3, first 2 shown]
	v_mul_f32_e32 v58, 0xbf6f5d39, v60
	v_add_f32_e32 v17, v17, v15
	v_add_f32_e32 v12, v8, v14
	;; [unrolled: 1-line block ×3, first 2 shown]
	v_sub_f32_e32 v14, v15, v9
	v_add_f32_e32 v16, v9, v15
	v_add_f32_e32 v9, v17, v9
	v_fma_f32 v15, 0xbeb58ec6, v13, -v58
	v_add_f32_e32 v8, v18, v8
	v_mul_f32_e32 v17, 0x3f7e222b, v14
	v_mul_f32_e32 v23, 0x3f7e222b, v48
	;; [unrolled: 1-line block ×3, first 2 shown]
	v_add_f32_e32 v15, v15, v19
	v_add_f32_e32 v10, v8, v10
	v_fma_f32 v19, 0x3df6dbef, v12, -v17
	v_add_f32_e32 v11, v9, v11
	v_fmamk_f32 v18, v38, 0xbf3f9e67, v62
	v_mul_f32_e32 v63, 0x3f7e222b, v52
	v_fmamk_f32 v9, v16, 0x3df6dbef, v23
	v_add_f32_e32 v8, v19, v15
	v_mul_f32_e32 v19, 0xbf29c268, v54
	v_add_f32_e32 v4, v10, v4
	v_add_f32_e32 v18, v29, v18
	v_fmamk_f32 v64, v37, 0x3df6dbef, v63
	v_add_f32_e32 v9, v9, v57
	v_add_f32_e32 v5, v11, v5
	v_fma_f32 v10, 0xbf3f9e67, v39, -v19
	v_mul_f32_e32 v57, 0x3f7e222b, v55
	v_add_f32_e32 v4, v4, v6
	v_add_f32_e32 v15, v64, v18
	;; [unrolled: 1-line block ×4, first 2 shown]
	v_fma_f32 v10, 0x3df6dbef, v40, -v57
	v_add_f32_e32 v0, v4, v0
	v_mul_f32_e32 v64, 0xbf52af12, v56
	v_mul_f32_e32 v18, 0xbf52af12, v51
	;; [unrolled: 1-line block ×3, first 2 shown]
	v_add_f32_e32 v4, v10, v7
	v_add_f32_e32 v0, v0, v2
	v_fma_f32 v2, 0x3f116cb1, v20, -v64
	v_fmamk_f32 v6, v36, 0x3f116cb1, v18
	v_add_f32_e32 v1, v5, v1
	v_mul_f32_e32 v65, 0x3e750f2a, v49
	v_mul_f32_e32 v68, 0x3eedf032, v60
	v_add_f32_e32 v2, v2, v4
	v_fma_f32 v4, 0xbf788fa5, v21, -v66
	v_add_f32_e32 v1, v1, v3
	v_add_f32_e32 v3, v6, v15
	v_fmamk_f32 v5, v34, 0xbf788fa5, v65
	v_mul_f32_e32 v67, 0x3eedf032, v50
	v_add_f32_e32 v2, v4, v2
	v_fma_f32 v4, 0x3f62ad3f, v13, -v68
	v_mul_f32_e32 v70, 0xbf6f5d39, v53
	v_add_f32_e32 v3, v5, v3
	v_fmamk_f32 v5, v35, 0x3f62ad3f, v67
	v_mul_f32_e32 v69, 0xbf6f5d39, v48
	v_add_f32_e32 v2, v4, v2
	v_fmamk_f32 v4, v38, 0xbeb58ec6, v70
	;; [unrolled: 3-line block ×4, first 2 shown]
	v_mul_f32_e32 v74, 0x3eedf032, v51
	v_add_f32_e32 v3, v5, v3
	v_fma_f32 v5, 0xbeb58ec6, v12, -v71
	v_mul_f32_e32 v73, 0xbf6f5d39, v54
	v_add_f32_e32 v4, v6, v4
	v_fmamk_f32 v6, v36, 0x3f62ad3f, v74
	v_mul_f32_e32 v76, 0xbf7e222b, v49
	v_add_f32_e32 v2, v5, v2
	v_fma_f32 v5, 0xbeb58ec6, v39, -v73
	v_mul_f32_e32 v75, 0x3f29c268, v55
	v_add_f32_e32 v4, v6, v4
	v_fmamk_f32 v6, v34, 0x3df6dbef, v76
	v_mul_f32_e32 v78, 0x3e750f2a, v50
	v_fma_f32 v45, 0xbf788fa5, v38, -v45
	v_fmac_f32_e32 v47, 0xbf788fa5, v39
	v_add_f32_e32 v5, v28, v5
	v_fma_f32 v7, 0xbf3f9e67, v40, -v75
	v_mul_f32_e32 v77, 0x3eedf032, v56
	v_add_f32_e32 v4, v6, v4
	v_fmamk_f32 v6, v35, 0xbf788fa5, v78
	v_mul_f32_e32 v80, 0xbf7e222b, v53
	v_add_f32_e32 v45, v29, v45
	v_fma_f32 v41, 0x3f62ad3f, v37, -v41
	v_add_f32_e32 v47, v28, v47
	v_fmac_f32_e32 v46, 0x3f62ad3f, v40
	v_add_f32_e32 v5, v7, v5
	v_fma_f32 v7, 0x3f62ad3f, v20, -v77
	v_mul_f32_e32 v79, 0xbf7e222b, v59
	v_add_f32_e32 v4, v6, v4
	v_fmamk_f32 v6, v38, 0x3df6dbef, v80
	v_mul_f32_e32 v82, 0xbe750f2a, v52
	v_mul_f32_e32 v84, 0xbf7e222b, v54
	v_add_f32_e32 v41, v41, v45
	v_fma_f32 v42, 0xbf3f9e67, v36, -v42
	v_add_f32_e32 v45, v46, v47
	v_fmac_f32_e32 v61, 0xbf3f9e67, v20
	v_add_f32_e32 v5, v7, v5
	v_fma_f32 v7, 0x3df6dbef, v21, -v79
	v_mul_f32_e32 v81, 0x3e750f2a, v60
	v_add_f32_e32 v6, v29, v6
	v_fmamk_f32 v10, v37, 0xbf788fa5, v82
	v_mul_f32_e32 v85, 0x3f6f5d39, v51
	v_fma_f32 v11, 0x3df6dbef, v39, -v84
	v_mul_f32_e32 v86, 0xbe750f2a, v55
	v_add_f32_e32 v41, v42, v41
	v_fma_f32 v42, 0x3f116cb1, v34, -v43
	v_add_f32_e32 v43, v61, v45
	v_fmac_f32_e32 v22, 0x3f116cb1, v21
	v_add_f32_e32 v5, v7, v5
	v_fma_f32 v7, 0xbf788fa5, v13, -v81
	v_mul_f32_e32 v83, 0x3f52af12, v48
	v_add_f32_e32 v6, v10, v6
	v_fmamk_f32 v10, v36, 0xbeb58ec6, v85
	v_add_f32_e32 v11, v28, v11
	v_fma_f32 v15, 0xbf788fa5, v40, -v86
	v_mul_f32_e32 v88, 0x3f6f5d39, v56
	v_mul_f32_e32 v89, 0x3eedf032, v49
	v_add_f32_e32 v41, v42, v41
	v_fma_f32 v42, 0xbeb58ec6, v35, -v44
	v_add_f32_e32 v22, v22, v43
	v_fma_f32 v43, 0xbf3f9e67, v38, -v62
	v_fmac_f32_e32 v19, 0xbf3f9e67, v39
	v_add_f32_e32 v7, v7, v5
	v_fmamk_f32 v5, v16, 0x3f116cb1, v83
	v_mul_f32_e32 v87, 0x3f52af12, v14
	v_add_f32_e32 v11, v15, v11
	v_fma_f32 v15, 0xbeb58ec6, v20, -v88
	v_mul_f32_e32 v90, 0x3eedf032, v59
	v_add_f32_e32 v6, v10, v6
	v_fmamk_f32 v10, v34, 0x3f62ad3f, v89
	v_mul_f32_e32 v91, 0xbf52af12, v50
	v_fmac_f32_e32 v58, 0xbeb58ec6, v13
	v_add_f32_e32 v41, v42, v41
	v_add_f32_e32 v42, v29, v43
	v_fma_f32 v43, 0x3df6dbef, v37, -v63
	v_fma_f32 v23, 0x3df6dbef, v16, -v23
	v_add_f32_e32 v19, v28, v19
	v_fmac_f32_e32 v57, 0x3df6dbef, v40
	v_add_f32_e32 v5, v5, v4
	v_fma_f32 v4, 0x3f116cb1, v12, -v87
	v_add_f32_e32 v11, v15, v11
	v_fma_f32 v15, 0x3f62ad3f, v21, -v90
	v_mul_f32_e32 v92, 0xbf52af12, v60
	v_add_f32_e32 v6, v10, v6
	v_fmamk_f32 v10, v35, 0x3f116cb1, v91
	v_mul_f32_e32 v93, 0xbf29c268, v48
	v_add_f32_e32 v22, v58, v22
	v_fmac_f32_e32 v17, 0x3df6dbef, v12
	v_add_f32_e32 v42, v43, v42
	v_fma_f32 v43, 0x3f116cb1, v36, -v18
	v_add_f32_e32 v18, v23, v41
	v_add_f32_e32 v19, v57, v19
	v_fmac_f32_e32 v64, 0x3f116cb1, v20
	v_fma_f32 v23, 0xbeb58ec6, v38, -v70
	v_add_f32_e32 v11, v15, v11
	v_fma_f32 v15, 0x3f116cb1, v13, -v92
	v_add_f32_e32 v4, v4, v7
	v_add_f32_e32 v6, v10, v6
	v_fmamk_f32 v7, v16, 0xbf3f9e67, v93
	v_mul_f32_e32 v94, 0xbf52af12, v53
	v_mul_f32_e32 v96, 0xbf52af12, v54
	v_add_f32_e32 v17, v17, v22
	v_add_f32_e32 v22, v43, v42
	v_fma_f32 v41, 0xbf788fa5, v34, -v65
	v_add_f32_e32 v19, v64, v19
	v_fmac_f32_e32 v66, 0xbf788fa5, v21
	v_add_f32_e32 v23, v29, v23
	v_fma_f32 v42, 0xbf3f9e67, v37, -v72
	v_add_f32_e32 v10, v15, v11
	v_add_f32_e32 v7, v7, v6
	v_fmamk_f32 v6, v38, 0x3f116cb1, v94
	v_mul_f32_e32 v97, 0xbf6f5d39, v52
	v_fma_f32 v15, 0x3f116cb1, v39, -v96
	v_mul_f32_e32 v98, 0xbf6f5d39, v55
	v_add_f32_e32 v22, v41, v22
	v_add_f32_e32 v19, v66, v19
	;; [unrolled: 1-line block ×3, first 2 shown]
	v_fma_f32 v42, 0x3f62ad3f, v35, -v67
	v_fmac_f32_e32 v68, 0x3f62ad3f, v13
	v_fma_f32 v43, 0x3f62ad3f, v36, -v74
	v_add_f32_e32 v6, v29, v6
	v_fmamk_f32 v99, v37, 0xbeb58ec6, v97
	v_mul_f32_e32 v100, 0xbe750f2a, v51
	v_add_f32_e32 v15, v28, v15
	v_fma_f32 v101, 0xbeb58ec6, v40, -v98
	v_mul_f32_e32 v102, 0xbe750f2a, v56
	v_add_f32_e32 v22, v42, v22
	v_add_f32_e32 v19, v68, v19
	;; [unrolled: 1-line block ×3, first 2 shown]
	v_fma_f32 v42, 0x3df6dbef, v34, -v76
	v_fma_f32 v43, 0xbeb58ec6, v16, -v69
	v_fmac_f32_e32 v71, 0xbeb58ec6, v12
	v_add_f32_e32 v6, v99, v6
	v_fmamk_f32 v99, v36, 0xbf788fa5, v100
	v_mul_f32_e32 v103, 0x3f29c268, v49
	v_add_f32_e32 v15, v101, v15
	v_fma_f32 v101, 0xbf788fa5, v20, -v102
	v_mul_f32_e32 v104, 0x3f29c268, v59
	v_add_f32_e32 v42, v42, v23
	v_fma_f32 v44, 0xbf788fa5, v35, -v78
	v_add_f32_e32 v23, v43, v22
	v_add_f32_e32 v22, v71, v19
	v_fma_f32 v19, 0x3df6dbef, v38, -v80
	v_mul_f32_e32 v95, 0xbf29c268, v14
	v_add_f32_e32 v6, v99, v6
	v_fmamk_f32 v99, v34, 0xbf3f9e67, v103
	v_mul_f32_e32 v105, 0x3f7e222b, v50
	v_add_f32_e32 v15, v101, v15
	v_fma_f32 v101, 0xbf3f9e67, v21, -v104
	v_mul_f32_e32 v106, 0x3f7e222b, v60
	v_add_f32_e32 v42, v44, v42
	v_add_f32_e32 v19, v29, v19
	v_fma_f32 v44, 0xbf788fa5, v37, -v82
	v_fma_f32 v11, 0xbf3f9e67, v12, -v95
	v_add_f32_e32 v6, v99, v6
	v_fmamk_f32 v99, v35, 0x3df6dbef, v105
	v_add_f32_e32 v15, v101, v15
	v_fma_f32 v101, 0x3df6dbef, v13, -v106
	v_mul_f32_e32 v53, 0xbeedf032, v53
	v_add_f32_e32 v19, v44, v19
	v_fma_f32 v44, 0xbeb58ec6, v36, -v85
	v_fma_f32 v45, 0x3f116cb1, v38, -v94
	v_mul_f32_e32 v107, 0x3eedf032, v48
	v_add_f32_e32 v99, v99, v6
	v_add_f32_e32 v6, v11, v10
	;; [unrolled: 1-line block ×3, first 2 shown]
	v_fmamk_f32 v15, v38, 0x3f62ad3f, v53
	v_mul_f32_e32 v52, 0xbf52af12, v52
	v_mul_f32_e32 v54, 0xbeedf032, v54
	v_add_f32_e32 v19, v44, v19
	v_fma_f32 v44, 0x3f62ad3f, v34, -v89
	v_add_f32_e32 v45, v29, v45
	v_fma_f32 v47, 0xbeb58ec6, v37, -v97
	v_fmamk_f32 v108, v16, 0x3f62ad3f, v107
	v_add_f32_e32 v15, v29, v15
	v_fmamk_f32 v101, v37, 0x3f116cb1, v52
	v_mul_f32_e32 v51, 0xbf7e222b, v51
	v_fma_f32 v109, 0x3f62ad3f, v39, -v54
	v_mul_f32_e32 v55, 0xbf52af12, v55
	v_add_f32_e32 v19, v44, v19
	v_fma_f32 v44, 0x3f116cb1, v35, -v91
	v_add_f32_e32 v45, v47, v45
	v_fma_f32 v47, 0xbf788fa5, v36, -v100
	v_fmac_f32_e32 v73, 0xbeb58ec6, v39
	v_add_f32_e32 v11, v108, v99
	v_mul_f32_e32 v99, 0x3eedf032, v14
	v_add_f32_e32 v15, v101, v15
	v_fmamk_f32 v101, v36, 0x3df6dbef, v51
	v_mul_f32_e32 v49, 0xbf6f5d39, v49
	v_add_f32_e32 v109, v28, v109
	v_fma_f32 v110, 0x3f116cb1, v40, -v55
	v_mul_f32_e32 v56, 0xbf7e222b, v56
	v_fma_f32 v43, 0x3f116cb1, v16, -v83
	v_fmac_f32_e32 v84, 0x3df6dbef, v39
	v_add_f32_e32 v19, v44, v19
	v_fma_f32 v44, 0xbf3f9e67, v16, -v93
	v_add_f32_e32 v45, v47, v45
	v_fma_f32 v47, 0xbf3f9e67, v34, -v103
	v_fmac_f32_e32 v96, 0x3f116cb1, v39
	v_fma_f32 v38, 0x3f62ad3f, v38, -v53
	v_fmac_f32_e32 v54, 0x3f62ad3f, v39
	v_add_f32_e32 v41, v28, v73
	v_fmac_f32_e32 v75, 0xbf3f9e67, v40
	v_fma_f32 v108, 0x3f62ad3f, v12, -v99
	v_add_f32_e32 v15, v101, v15
	v_fmamk_f32 v101, v34, 0xbeb58ec6, v49
	v_mul_f32_e32 v50, 0xbf29c268, v50
	v_add_f32_e32 v109, v110, v109
	v_fma_f32 v110, 0x3df6dbef, v20, -v56
	v_mul_f32_e32 v59, 0xbf6f5d39, v59
	v_add_f32_e32 v42, v43, v42
	v_add_f32_e32 v43, v28, v84
	v_fmac_f32_e32 v86, 0xbf788fa5, v40
	v_add_f32_e32 v44, v44, v19
	v_add_f32_e32 v19, v47, v45
	v_add_f32_e32 v47, v28, v96
	v_fmac_f32_e32 v98, 0xbeb58ec6, v40
	v_add_f32_e32 v29, v29, v38
	v_fma_f32 v37, 0x3f116cb1, v37, -v52
	v_add_f32_e32 v28, v28, v54
	v_fmac_f32_e32 v55, 0x3f116cb1, v40
	v_add_f32_e32 v41, v75, v41
	v_fmac_f32_e32 v77, 0x3f62ad3f, v20
	v_add_f32_e32 v10, v108, v10
	v_add_f32_e32 v15, v101, v15
	v_fmamk_f32 v101, v35, 0xbf3f9e67, v50
	v_add_f32_e32 v108, v110, v109
	v_fma_f32 v109, 0xbeb58ec6, v21, -v59
	v_mul_f32_e32 v60, 0xbf29c268, v60
	v_mul_f32_e32 v48, 0xbe750f2a, v48
	v_add_f32_e32 v43, v86, v43
	v_fmac_f32_e32 v88, 0xbeb58ec6, v20
	v_add_f32_e32 v39, v98, v47
	v_fmac_f32_e32 v102, 0xbf788fa5, v20
	v_add_f32_e32 v29, v37, v29
	v_fma_f32 v36, 0x3df6dbef, v36, -v51
	v_add_f32_e32 v28, v55, v28
	v_fmac_f32_e32 v56, 0x3df6dbef, v20
	v_add_f32_e32 v41, v77, v41
	v_fmac_f32_e32 v79, 0x3df6dbef, v21
	v_add_f32_e32 v15, v101, v15
	v_add_f32_e32 v101, v109, v108
	v_fma_f32 v108, 0xbf3f9e67, v13, -v60
	v_mul_f32_e32 v46, 0xbe750f2a, v14
	v_fmamk_f32 v14, v16, 0xbf788fa5, v48
	v_add_f32_e32 v43, v88, v43
	v_fmac_f32_e32 v90, 0x3f62ad3f, v21
	v_add_f32_e32 v38, v102, v39
	v_fmac_f32_e32 v104, 0xbf3f9e67, v21
	v_add_f32_e32 v29, v36, v29
	v_fma_f32 v34, 0xbeb58ec6, v34, -v49
	v_add_f32_e32 v28, v56, v28
	v_fmac_f32_e32 v59, 0xbeb58ec6, v21
	v_add_f32_e32 v41, v79, v41
	v_fmac_f32_e32 v81, 0xbf788fa5, v13
	v_add_f32_e32 v101, v108, v101
	v_add_f32_e32 v15, v14, v15
	v_fma_f32 v14, 0xbf788fa5, v12, -v46
	v_add_f32_e32 v43, v90, v43
	v_fmac_f32_e32 v92, 0x3f116cb1, v13
	v_fma_f32 v45, 0x3df6dbef, v35, -v105
	v_add_f32_e32 v20, v104, v38
	v_fmac_f32_e32 v106, 0x3df6dbef, v13
	v_add_f32_e32 v29, v34, v29
	v_fma_f32 v34, 0xbf3f9e67, v35, -v50
	v_add_f32_e32 v28, v59, v28
	v_fmac_f32_e32 v60, 0xbf3f9e67, v13
	v_mul_u32_u24_e32 v13, 0x68, v24
	v_add_f32_e32 v41, v81, v41
	v_fmac_f32_e32 v87, 0x3f116cb1, v12
	v_add_f32_e32 v14, v14, v101
	v_add_f32_e32 v43, v92, v43
	v_fmac_f32_e32 v95, 0xbf3f9e67, v12
	v_add_f32_e32 v19, v45, v19
	v_fma_f32 v21, 0x3f62ad3f, v16, -v107
	v_add_f32_e32 v20, v106, v20
	v_fmac_f32_e32 v99, 0x3f62ad3f, v12
	v_add_f32_e32 v29, v34, v29
	v_fma_f32 v16, 0xbf788fa5, v16, -v48
	v_add_f32_e32 v28, v60, v28
	v_fmac_f32_e32 v46, 0xbf788fa5, v12
	v_add3_u32 v33, 0, v13, v33
	v_add_f32_e32 v41, v87, v41
	v_add_f32_e32 v43, v95, v43
	;; [unrolled: 1-line block ×6, first 2 shown]
	ds_write2_b64 v33, v[0:1], v[14:15] offset1:1
	ds_write2_b64 v33, v[10:11], v[6:7] offset0:2 offset1:3
	ds_write2_b64 v33, v[4:5], v[2:3] offset0:4 offset1:5
	;; [unrolled: 1-line block ×5, first 2 shown]
	ds_write_b64 v33, v[19:20] offset:96
.LBB0_13:
	s_or_b32 exec_lo, exec_lo, s1
	v_mul_u32_u24_e32 v0, 9, v24
	s_waitcnt lgkmcnt(0)
	s_barrier
	buffer_gl0_inv
	s_mov_b32 s1, exec_lo
	v_lshlrev_b32_e32 v16, 3, v0
	s_clause 0x4
	global_load_dwordx4 v[0:3], v16, s[8:9]
	global_load_dwordx4 v[4:7], v16, s[8:9] offset:16
	global_load_dwordx4 v[8:11], v16, s[8:9] offset:32
	;; [unrolled: 1-line block ×3, first 2 shown]
	global_load_dwordx2 v[28:29], v16, s[8:9] offset:64
	ds_read2_b64 v[16:19], v32 offset0:13 offset1:26
	ds_read2_b64 v[20:23], v32 offset0:39 offset1:52
	;; [unrolled: 1-line block ×4, first 2 shown]
	ds_read_b64 v[41:42], v30
	ds_read_b64 v[43:44], v32 offset:936
	s_waitcnt vmcnt(0) lgkmcnt(0)
	s_barrier
	buffer_gl0_inv
	v_mul_f32_e32 v45, v1, v17
	v_mul_f32_e32 v46, v1, v16
	;; [unrolled: 1-line block ×18, first 2 shown]
	v_fma_f32 v16, v0, v16, -v45
	v_fmac_f32_e32 v46, v0, v17
	v_fma_f32 v0, v2, v18, -v1
	v_fmac_f32_e32 v3, v2, v19
	;; [unrolled: 2-line block ×9, first 2 shown]
	v_add_f32_e32 v14, v41, v0
	v_sub_f32_e32 v20, v0, v2
	v_sub_f32_e32 v21, v10, v6
	;; [unrolled: 1-line block ×4, first 2 shown]
	v_add_f32_e32 v33, v42, v3
	v_sub_f32_e32 v36, v3, v7
	v_sub_f32_e32 v37, v15, v11
	v_add_f32_e32 v43, v4, v8
	v_add_f32_e32 v53, v9, v13
	v_add_f32_e32 v40, v16, v1
	v_add_f32_e32 v49, v1, v12
	v_add_f32_e32 v52, v46, v5
	v_add_f32_e32 v57, v5, v29
	v_add_f32_e32 v17, v2, v6
	v_sub_f32_e32 v18, v3, v15
	v_sub_f32_e32 v19, v7, v11
	v_add_f32_e32 v34, v7, v11
	v_sub_f32_e32 v35, v2, v6
	v_add_f32_e32 v38, v3, v15
	v_sub_f32_e32 v3, v7, v3
	v_sub_f32_e32 v44, v5, v29
	;; [unrolled: 1-line block ×5, first 2 shown]
	v_add_f32_e32 v2, v14, v2
	v_add_f32_e32 v14, v20, v21
	;; [unrolled: 1-line block ×5, first 2 shown]
	v_fma_f32 v28, -0.5, v43, v16
	v_fma_f32 v36, -0.5, v53, v46
	v_add_f32_e32 v22, v0, v10
	v_sub_f32_e32 v45, v9, v13
	v_sub_f32_e32 v54, v4, v8
	;; [unrolled: 1-line block ×4, first 2 shown]
	v_add_f32_e32 v4, v40, v4
	v_fmac_f32_e32 v16, -0.5, v49
	v_add_f32_e32 v9, v52, v9
	v_fmac_f32_e32 v46, -0.5, v57
	v_sub_f32_e32 v39, v11, v15
	v_sub_f32_e32 v48, v12, v8
	;; [unrolled: 1-line block ×3, first 2 shown]
	v_add_f32_e32 v2, v2, v6
	v_add_f32_e32 v6, v7, v11
	v_fmamk_f32 v7, v44, 0x3f737871, v28
	v_fmamk_f32 v11, v1, 0xbf737871, v36
	v_sub_f32_e32 v51, v8, v12
	v_sub_f32_e32 v58, v13, v29
	v_fma_f32 v17, -0.5, v17, v41
	v_fma_f32 v20, -0.5, v22, v41
	;; [unrolled: 1-line block ×3, first 2 shown]
	v_fmac_f32_e32 v42, -0.5, v38
	v_add_f32_e32 v4, v4, v8
	v_fmamk_f32 v8, v45, 0xbf737871, v16
	v_fmac_f32_e32 v16, 0x3f737871, v45
	v_add_f32_e32 v9, v9, v13
	v_fmamk_f32 v13, v54, 0x3f737871, v46
	v_fmac_f32_e32 v46, 0xbf737871, v54
	v_fmac_f32_e32 v28, 0xbf737871, v44
	;; [unrolled: 1-line block ×3, first 2 shown]
	v_sub_f32_e32 v0, v0, v10
	v_add_f32_e32 v33, v47, v48
	v_add_f32_e32 v37, v55, v56
	v_fmac_f32_e32 v7, 0x3f167918, v45
	v_fmac_f32_e32 v11, 0xbf167918, v54
	v_add_f32_e32 v34, v50, v51
	v_add_f32_e32 v5, v5, v58
	v_fmamk_f32 v38, v18, 0x3f737871, v17
	v_fmac_f32_e32 v17, 0xbf737871, v18
	v_fmamk_f32 v41, v35, 0x3f737871, v42
	v_fmac_f32_e32 v42, 0xbf737871, v35
	v_fmac_f32_e32 v8, 0x3f167918, v44
	;; [unrolled: 1-line block ×7, first 2 shown]
	v_fmamk_f32 v40, v0, 0xbf737871, v22
	v_fmac_f32_e32 v7, 0x3e9e377a, v33
	v_fmac_f32_e32 v11, 0x3e9e377a, v37
	v_add_f32_e32 v3, v3, v39
	v_fmamk_f32 v39, v19, 0xbf737871, v20
	v_fmac_f32_e32 v20, 0x3f737871, v19
	v_fmac_f32_e32 v22, 0x3f737871, v0
	v_add_f32_e32 v2, v2, v10
	v_fmac_f32_e32 v38, 0x3f167918, v19
	v_fmac_f32_e32 v17, 0xbf167918, v19
	v_add_f32_e32 v6, v6, v15
	;; [unrolled: 3-line block ×3, first 2 shown]
	v_add_f32_e32 v9, v9, v29
	v_fmac_f32_e32 v8, 0x3e9e377a, v34
	v_fmac_f32_e32 v16, 0x3e9e377a, v34
	v_fmac_f32_e32 v13, 0x3e9e377a, v5
	v_fmac_f32_e32 v46, 0x3e9e377a, v5
	v_fmac_f32_e32 v28, 0x3e9e377a, v33
	v_fmac_f32_e32 v36, 0x3e9e377a, v37
	v_fmac_f32_e32 v40, 0xbf167918, v35
	v_mul_f32_e32 v12, 0x3f167918, v11
	v_mul_f32_e32 v15, 0xbf167918, v7
	v_fmac_f32_e32 v39, 0x3f167918, v18
	v_fmac_f32_e32 v20, 0xbf167918, v18
	;; [unrolled: 1-line block ×7, first 2 shown]
	v_add_f32_e32 v0, v2, v4
	v_add_f32_e32 v1, v6, v9
	v_sub_f32_e32 v2, v2, v4
	v_sub_f32_e32 v3, v6, v9
	v_mul_f32_e32 v14, 0x3f737871, v13
	v_mul_f32_e32 v4, 0x3e9e377a, v16
	;; [unrolled: 1-line block ×6, first 2 shown]
	v_fmac_f32_e32 v40, 0x3e9e377a, v23
	v_fmac_f32_e32 v12, 0x3f4f1bbd, v7
	;; [unrolled: 1-line block ×7, first 2 shown]
	v_fma_f32 v18, 0x3f737871, v46, -v4
	v_fmac_f32_e32 v19, 0x3e9e377a, v13
	v_fma_f32 v23, 0xbf737871, v16, -v6
	v_fma_f32 v21, 0x3f167918, v36, -v5
	;; [unrolled: 1-line block ×3, first 2 shown]
	v_add_f32_e32 v4, v38, v12
	v_add_f32_e32 v5, v40, v15
	;; [unrolled: 1-line block ×8, first 2 shown]
	v_sub_f32_e32 v12, v38, v12
	v_sub_f32_e32 v14, v39, v14
	;; [unrolled: 1-line block ×8, first 2 shown]
	ds_write2_b64 v32, v[0:1], v[4:5] offset1:13
	ds_write2_b64 v32, v[6:7], v[8:9] offset0:26 offset1:39
	ds_write2_b64 v32, v[10:11], v[2:3] offset0:52 offset1:65
	ds_write2_b64 v32, v[12:13], v[14:15] offset0:78 offset1:91
	ds_write2_b64 v32, v[16:17], v[18:19] offset0:104 offset1:117
	s_waitcnt lgkmcnt(0)
	s_barrier
	buffer_gl0_inv
	ds_read_b64 v[0:1], v30
	v_sub_nc_u32_e32 v4, v25, v31
                                        ; implicit-def: $vgpr6
                                        ; implicit-def: $vgpr5
                                        ; implicit-def: $vgpr2_vgpr3
	v_cmpx_ne_u32_e32 0, v24
	s_xor_b32 s1, exec_lo, s1
	s_cbranch_execz .LBB0_15
; %bb.14:
	v_mov_b32_e32 v25, 0
	ds_read_b64 v[5:6], v4 offset:1040
	v_lshlrev_b64 v[2:3], 3, v[24:25]
	v_add_co_u32 v2, s0, s8, v2
	v_add_co_ci_u32_e64 v3, s0, s9, v3, s0
	global_load_dwordx2 v[2:3], v[2:3], off offset:936
	s_waitcnt lgkmcnt(0)
	v_sub_f32_e32 v7, v0, v5
	v_add_f32_e32 v8, v6, v1
	v_sub_f32_e32 v1, v1, v6
	v_add_f32_e32 v0, v5, v0
	v_mul_f32_e32 v6, 0.5, v7
	v_mul_f32_e32 v7, 0.5, v8
	;; [unrolled: 1-line block ×3, first 2 shown]
	s_waitcnt vmcnt(0)
	v_mul_f32_e32 v8, v3, v6
	v_fma_f32 v9, v7, v3, v1
	v_fma_f32 v1, v7, v3, -v1
	v_fma_f32 v5, 0.5, v0, v8
	v_fma_f32 v0, v0, 0.5, -v8
	v_fma_f32 v8, -v2, v6, v9
	v_fma_f32 v1, -v2, v6, v1
	ds_write_b32 v30, v8 offset:4
	ds_write_b32 v4, v1 offset:1044
	v_fmac_f32_e32 v5, v2, v7
	v_fma_f32 v6, -v2, v7, v0
	v_mov_b32_e32 v2, v24
	v_mov_b32_e32 v3, v25
                                        ; implicit-def: $vgpr0_vgpr1
                                        ; implicit-def: $vgpr25
.LBB0_15:
	s_andn2_saveexec_b32 s0, s1
	s_cbranch_execz .LBB0_17
; %bb.16:
	v_mov_b32_e32 v2, 0
	s_waitcnt lgkmcnt(0)
	v_add_f32_e32 v5, v0, v1
	v_sub_f32_e32 v6, v0, v1
	ds_write_b32 v30, v2 offset:4
	ds_write_b32 v4, v2 offset:1044
	ds_read_b32 v2, v25 offset:524
	s_waitcnt lgkmcnt(0)
	v_xor_b32_e32 v7, 0x80000000, v2
	v_mov_b32_e32 v2, 0
	v_mov_b32_e32 v3, 0
	ds_write_b32 v25, v7 offset:524
.LBB0_17:
	s_or_b32 exec_lo, exec_lo, s0
	s_waitcnt lgkmcnt(0)
	v_lshlrev_b64 v[0:1], 3, v[2:3]
	s_add_u32 s0, s8, 0x3a8
	s_addc_u32 s1, s9, 0
	v_add_co_u32 v2, s0, s0, v0
	v_add_co_ci_u32_e64 v3, s0, s1, v1, s0
	s_clause 0x3
	global_load_dwordx2 v[7:8], v[2:3], off offset:104
	global_load_dwordx2 v[9:10], v[2:3], off offset:208
	;; [unrolled: 1-line block ×4, first 2 shown]
	ds_write_b32 v30, v5
	ds_write_b32 v4, v6 offset:1040
	ds_read_b64 v[5:6], v30 offset:104
	ds_read_b64 v[13:14], v4 offset:936
	s_waitcnt lgkmcnt(0)
	v_sub_f32_e32 v15, v5, v13
	v_add_f32_e32 v16, v6, v14
	v_sub_f32_e32 v6, v6, v14
	v_add_f32_e32 v5, v5, v13
	v_mul_f32_e32 v14, 0.5, v15
	v_mul_f32_e32 v15, 0.5, v16
	v_mul_f32_e32 v6, 0.5, v6
	s_waitcnt vmcnt(3)
	v_mul_f32_e32 v13, v8, v14
	v_fma_f32 v16, v15, v8, v6
	v_fma_f32 v6, v15, v8, -v6
	v_fma_f32 v8, 0.5, v5, v13
	v_fma_f32 v5, v5, 0.5, -v13
	v_fma_f32 v13, -v7, v14, v16
	v_fma_f32 v6, -v7, v14, v6
	v_fmac_f32_e32 v8, v7, v15
	v_fma_f32 v5, -v7, v15, v5
	ds_write2_b32 v30, v8, v13 offset0:26 offset1:27
	ds_write_b64 v4, v[5:6] offset:936
	ds_read_b64 v[5:6], v30 offset:208
	ds_read_b64 v[7:8], v4 offset:832
	s_waitcnt lgkmcnt(0)
	v_sub_f32_e32 v13, v5, v7
	v_add_f32_e32 v14, v6, v8
	v_sub_f32_e32 v6, v6, v8
	v_add_f32_e32 v5, v5, v7
	v_mul_f32_e32 v8, 0.5, v13
	v_mul_f32_e32 v13, 0.5, v14
	v_mul_f32_e32 v6, 0.5, v6
	s_waitcnt vmcnt(2)
	v_mul_f32_e32 v7, v10, v8
	v_fma_f32 v14, v13, v10, v6
	v_fma_f32 v6, v13, v10, -v6
	v_fma_f32 v10, 0.5, v5, v7
	v_fma_f32 v5, v5, 0.5, -v7
	v_fma_f32 v7, -v9, v8, v14
	v_fma_f32 v6, -v9, v8, v6
	v_fmac_f32_e32 v10, v9, v13
	v_fma_f32 v5, -v9, v13, v5
	ds_write2_b32 v30, v10, v7 offset0:52 offset1:53
	ds_write_b64 v4, v[5:6] offset:832
	;; [unrolled: 22-line block ×4, first 2 shown]
	s_waitcnt lgkmcnt(0)
	s_barrier
	buffer_gl0_inv
	s_and_saveexec_b32 s0, vcc_lo
	s_cbranch_execz .LBB0_20
; %bb.18:
	ds_read2_b64 v[4:7], v30 offset1:13
	ds_read2_b64 v[8:11], v30 offset0:26 offset1:39
	ds_read2_b64 v[12:15], v30 offset0:52 offset1:65
	;; [unrolled: 1-line block ×4, first 2 shown]
	v_add_co_u32 v2, vcc_lo, s2, v26
	v_add_co_ci_u32_e32 v3, vcc_lo, s3, v27, vcc_lo
	v_add_co_u32 v0, vcc_lo, v2, v0
	v_add_co_ci_u32_e32 v1, vcc_lo, v3, v1, vcc_lo
	v_cmp_eq_u32_e32 vcc_lo, 12, v24
	s_waitcnt lgkmcnt(4)
	global_store_dwordx2 v[0:1], v[4:5], off
	global_store_dwordx2 v[0:1], v[6:7], off offset:104
	s_waitcnt lgkmcnt(3)
	global_store_dwordx2 v[0:1], v[8:9], off offset:208
	global_store_dwordx2 v[0:1], v[10:11], off offset:312
	s_waitcnt lgkmcnt(2)
	global_store_dwordx2 v[0:1], v[12:13], off offset:416
	;; [unrolled: 3-line block ×4, first 2 shown]
	global_store_dwordx2 v[0:1], v[22:23], off offset:936
	s_and_b32 exec_lo, exec_lo, vcc_lo
	s_cbranch_execz .LBB0_20
; %bb.19:
	ds_read_b64 v[0:1], v30 offset:944
	s_waitcnt lgkmcnt(0)
	global_store_dwordx2 v[2:3], v[0:1], off offset:1040
.LBB0_20:
	s_endpgm
	.section	.rodata,"a",@progbits
	.p2align	6, 0x0
	.amdhsa_kernel fft_rtc_fwd_len130_factors_13_10_wgs_52_tpt_13_sp_ip_CI_unitstride_sbrr_R2C_dirReg
		.amdhsa_group_segment_fixed_size 0
		.amdhsa_private_segment_fixed_size 0
		.amdhsa_kernarg_size 88
		.amdhsa_user_sgpr_count 6
		.amdhsa_user_sgpr_private_segment_buffer 1
		.amdhsa_user_sgpr_dispatch_ptr 0
		.amdhsa_user_sgpr_queue_ptr 0
		.amdhsa_user_sgpr_kernarg_segment_ptr 1
		.amdhsa_user_sgpr_dispatch_id 0
		.amdhsa_user_sgpr_flat_scratch_init 0
		.amdhsa_user_sgpr_private_segment_size 0
		.amdhsa_wavefront_size32 1
		.amdhsa_uses_dynamic_stack 0
		.amdhsa_system_sgpr_private_segment_wavefront_offset 0
		.amdhsa_system_sgpr_workgroup_id_x 1
		.amdhsa_system_sgpr_workgroup_id_y 0
		.amdhsa_system_sgpr_workgroup_id_z 0
		.amdhsa_system_sgpr_workgroup_info 0
		.amdhsa_system_vgpr_workitem_id 0
		.amdhsa_next_free_vgpr 111
		.amdhsa_next_free_sgpr 21
		.amdhsa_reserve_vcc 1
		.amdhsa_reserve_flat_scratch 0
		.amdhsa_float_round_mode_32 0
		.amdhsa_float_round_mode_16_64 0
		.amdhsa_float_denorm_mode_32 3
		.amdhsa_float_denorm_mode_16_64 3
		.amdhsa_dx10_clamp 1
		.amdhsa_ieee_mode 1
		.amdhsa_fp16_overflow 0
		.amdhsa_workgroup_processor_mode 1
		.amdhsa_memory_ordered 1
		.amdhsa_forward_progress 0
		.amdhsa_shared_vgpr_count 0
		.amdhsa_exception_fp_ieee_invalid_op 0
		.amdhsa_exception_fp_denorm_src 0
		.amdhsa_exception_fp_ieee_div_zero 0
		.amdhsa_exception_fp_ieee_overflow 0
		.amdhsa_exception_fp_ieee_underflow 0
		.amdhsa_exception_fp_ieee_inexact 0
		.amdhsa_exception_int_div_zero 0
	.end_amdhsa_kernel
	.text
.Lfunc_end0:
	.size	fft_rtc_fwd_len130_factors_13_10_wgs_52_tpt_13_sp_ip_CI_unitstride_sbrr_R2C_dirReg, .Lfunc_end0-fft_rtc_fwd_len130_factors_13_10_wgs_52_tpt_13_sp_ip_CI_unitstride_sbrr_R2C_dirReg
                                        ; -- End function
	.section	.AMDGPU.csdata,"",@progbits
; Kernel info:
; codeLenInByte = 6716
; NumSgprs: 23
; NumVgprs: 111
; ScratchSize: 0
; MemoryBound: 0
; FloatMode: 240
; IeeeMode: 1
; LDSByteSize: 0 bytes/workgroup (compile time only)
; SGPRBlocks: 2
; VGPRBlocks: 13
; NumSGPRsForWavesPerEU: 23
; NumVGPRsForWavesPerEU: 111
; Occupancy: 9
; WaveLimiterHint : 1
; COMPUTE_PGM_RSRC2:SCRATCH_EN: 0
; COMPUTE_PGM_RSRC2:USER_SGPR: 6
; COMPUTE_PGM_RSRC2:TRAP_HANDLER: 0
; COMPUTE_PGM_RSRC2:TGID_X_EN: 1
; COMPUTE_PGM_RSRC2:TGID_Y_EN: 0
; COMPUTE_PGM_RSRC2:TGID_Z_EN: 0
; COMPUTE_PGM_RSRC2:TIDIG_COMP_CNT: 0
	.text
	.p2alignl 6, 3214868480
	.fill 48, 4, 3214868480
	.type	__hip_cuid_b98241d296cfa5e5,@object ; @__hip_cuid_b98241d296cfa5e5
	.section	.bss,"aw",@nobits
	.globl	__hip_cuid_b98241d296cfa5e5
__hip_cuid_b98241d296cfa5e5:
	.byte	0                               ; 0x0
	.size	__hip_cuid_b98241d296cfa5e5, 1

	.ident	"AMD clang version 19.0.0git (https://github.com/RadeonOpenCompute/llvm-project roc-6.4.0 25133 c7fe45cf4b819c5991fe208aaa96edf142730f1d)"
	.section	".note.GNU-stack","",@progbits
	.addrsig
	.addrsig_sym __hip_cuid_b98241d296cfa5e5
	.amdgpu_metadata
---
amdhsa.kernels:
  - .args:
      - .actual_access:  read_only
        .address_space:  global
        .offset:         0
        .size:           8
        .value_kind:     global_buffer
      - .offset:         8
        .size:           8
        .value_kind:     by_value
      - .actual_access:  read_only
        .address_space:  global
        .offset:         16
        .size:           8
        .value_kind:     global_buffer
      - .actual_access:  read_only
        .address_space:  global
        .offset:         24
        .size:           8
        .value_kind:     global_buffer
      - .offset:         32
        .size:           8
        .value_kind:     by_value
      - .actual_access:  read_only
        .address_space:  global
        .offset:         40
        .size:           8
        .value_kind:     global_buffer
      - .actual_access:  read_only
        .address_space:  global
        .offset:         48
        .size:           8
        .value_kind:     global_buffer
      - .offset:         56
        .size:           4
        .value_kind:     by_value
      - .actual_access:  read_only
        .address_space:  global
        .offset:         64
        .size:           8
        .value_kind:     global_buffer
      - .actual_access:  read_only
        .address_space:  global
        .offset:         72
        .size:           8
        .value_kind:     global_buffer
      - .address_space:  global
        .offset:         80
        .size:           8
        .value_kind:     global_buffer
    .group_segment_fixed_size: 0
    .kernarg_segment_align: 8
    .kernarg_segment_size: 88
    .language:       OpenCL C
    .language_version:
      - 2
      - 0
    .max_flat_workgroup_size: 52
    .name:           fft_rtc_fwd_len130_factors_13_10_wgs_52_tpt_13_sp_ip_CI_unitstride_sbrr_R2C_dirReg
    .private_segment_fixed_size: 0
    .sgpr_count:     23
    .sgpr_spill_count: 0
    .symbol:         fft_rtc_fwd_len130_factors_13_10_wgs_52_tpt_13_sp_ip_CI_unitstride_sbrr_R2C_dirReg.kd
    .uniform_work_group_size: 1
    .uses_dynamic_stack: false
    .vgpr_count:     111
    .vgpr_spill_count: 0
    .wavefront_size: 32
    .workgroup_processor_mode: 1
amdhsa.target:   amdgcn-amd-amdhsa--gfx1030
amdhsa.version:
  - 1
  - 2
...

	.end_amdgpu_metadata
